;; amdgpu-corpus repo=ROCm/rocFFT kind=compiled arch=gfx906 opt=O3
	.text
	.amdgcn_target "amdgcn-amd-amdhsa--gfx906"
	.amdhsa_code_object_version 6
	.protected	fft_rtc_fwd_len686_factors_7_7_7_2_wgs_49_tpt_49_sp_ip_CI_unitstride_sbrr_C2R_dirReg ; -- Begin function fft_rtc_fwd_len686_factors_7_7_7_2_wgs_49_tpt_49_sp_ip_CI_unitstride_sbrr_C2R_dirReg
	.globl	fft_rtc_fwd_len686_factors_7_7_7_2_wgs_49_tpt_49_sp_ip_CI_unitstride_sbrr_C2R_dirReg
	.p2align	8
	.type	fft_rtc_fwd_len686_factors_7_7_7_2_wgs_49_tpt_49_sp_ip_CI_unitstride_sbrr_C2R_dirReg,@function
fft_rtc_fwd_len686_factors_7_7_7_2_wgs_49_tpt_49_sp_ip_CI_unitstride_sbrr_C2R_dirReg: ; @fft_rtc_fwd_len686_factors_7_7_7_2_wgs_49_tpt_49_sp_ip_CI_unitstride_sbrr_C2R_dirReg
; %bb.0:
	s_load_dwordx2 s[2:3], s[4:5], 0x50
	s_load_dwordx4 s[8:11], s[4:5], 0x0
	s_load_dwordx2 s[12:13], s[4:5], 0x18
	v_mul_u32_u24_e32 v1, 0x53a, v0
	v_add_u32_sdwa v5, s6, v1 dst_sel:DWORD dst_unused:UNUSED_PAD src0_sel:DWORD src1_sel:WORD_1
	v_mov_b32_e32 v3, 0
	s_waitcnt lgkmcnt(0)
	v_cmp_lt_u64_e64 s[0:1], s[10:11], 2
	v_mov_b32_e32 v1, 0
	v_mov_b32_e32 v6, v3
	s_and_b64 vcc, exec, s[0:1]
	v_mov_b32_e32 v2, 0
	s_cbranch_vccnz .LBB0_8
; %bb.1:
	s_load_dwordx2 s[0:1], s[4:5], 0x10
	s_add_u32 s6, s12, 8
	s_addc_u32 s7, s13, 0
	v_mov_b32_e32 v1, 0
	v_mov_b32_e32 v2, 0
	s_waitcnt lgkmcnt(0)
	s_add_u32 s14, s0, 8
	s_addc_u32 s15, s1, 0
	s_mov_b64 s[16:17], 1
.LBB0_2:                                ; =>This Inner Loop Header: Depth=1
	s_load_dwordx2 s[18:19], s[14:15], 0x0
                                        ; implicit-def: $vgpr7_vgpr8
	s_waitcnt lgkmcnt(0)
	v_or_b32_e32 v4, s19, v6
	v_cmp_ne_u64_e32 vcc, 0, v[3:4]
	s_and_saveexec_b64 s[0:1], vcc
	s_xor_b64 s[20:21], exec, s[0:1]
	s_cbranch_execz .LBB0_4
; %bb.3:                                ;   in Loop: Header=BB0_2 Depth=1
	v_cvt_f32_u32_e32 v4, s18
	v_cvt_f32_u32_e32 v7, s19
	s_sub_u32 s0, 0, s18
	s_subb_u32 s1, 0, s19
	v_mac_f32_e32 v4, 0x4f800000, v7
	v_rcp_f32_e32 v4, v4
	v_mul_f32_e32 v4, 0x5f7ffffc, v4
	v_mul_f32_e32 v7, 0x2f800000, v4
	v_trunc_f32_e32 v7, v7
	v_mac_f32_e32 v4, 0xcf800000, v7
	v_cvt_u32_f32_e32 v7, v7
	v_cvt_u32_f32_e32 v4, v4
	v_mul_lo_u32 v8, s0, v7
	v_mul_hi_u32 v9, s0, v4
	v_mul_lo_u32 v11, s1, v4
	v_mul_lo_u32 v10, s0, v4
	v_add_u32_e32 v8, v9, v8
	v_add_u32_e32 v8, v8, v11
	v_mul_hi_u32 v9, v4, v10
	v_mul_lo_u32 v11, v4, v8
	v_mul_hi_u32 v13, v4, v8
	v_mul_hi_u32 v12, v7, v10
	v_mul_lo_u32 v10, v7, v10
	v_mul_hi_u32 v14, v7, v8
	v_add_co_u32_e32 v9, vcc, v9, v11
	v_addc_co_u32_e32 v11, vcc, 0, v13, vcc
	v_mul_lo_u32 v8, v7, v8
	v_add_co_u32_e32 v9, vcc, v9, v10
	v_addc_co_u32_e32 v9, vcc, v11, v12, vcc
	v_addc_co_u32_e32 v10, vcc, 0, v14, vcc
	v_add_co_u32_e32 v8, vcc, v9, v8
	v_addc_co_u32_e32 v9, vcc, 0, v10, vcc
	v_add_co_u32_e32 v4, vcc, v4, v8
	v_addc_co_u32_e32 v7, vcc, v7, v9, vcc
	v_mul_lo_u32 v8, s0, v7
	v_mul_hi_u32 v9, s0, v4
	v_mul_lo_u32 v10, s1, v4
	v_mul_lo_u32 v11, s0, v4
	v_add_u32_e32 v8, v9, v8
	v_add_u32_e32 v8, v8, v10
	v_mul_lo_u32 v12, v4, v8
	v_mul_hi_u32 v13, v4, v11
	v_mul_hi_u32 v14, v4, v8
	;; [unrolled: 1-line block ×3, first 2 shown]
	v_mul_lo_u32 v11, v7, v11
	v_mul_hi_u32 v9, v7, v8
	v_add_co_u32_e32 v12, vcc, v13, v12
	v_addc_co_u32_e32 v13, vcc, 0, v14, vcc
	v_mul_lo_u32 v8, v7, v8
	v_add_co_u32_e32 v11, vcc, v12, v11
	v_addc_co_u32_e32 v10, vcc, v13, v10, vcc
	v_addc_co_u32_e32 v9, vcc, 0, v9, vcc
	v_add_co_u32_e32 v8, vcc, v10, v8
	v_addc_co_u32_e32 v9, vcc, 0, v9, vcc
	v_add_co_u32_e32 v4, vcc, v4, v8
	v_addc_co_u32_e32 v9, vcc, v7, v9, vcc
	v_mad_u64_u32 v[7:8], s[0:1], v5, v9, 0
	v_mul_hi_u32 v10, v5, v4
	v_add_co_u32_e32 v11, vcc, v10, v7
	v_addc_co_u32_e32 v12, vcc, 0, v8, vcc
	v_mad_u64_u32 v[7:8], s[0:1], v6, v4, 0
	v_mad_u64_u32 v[9:10], s[0:1], v6, v9, 0
	v_add_co_u32_e32 v4, vcc, v11, v7
	v_addc_co_u32_e32 v4, vcc, v12, v8, vcc
	v_addc_co_u32_e32 v7, vcc, 0, v10, vcc
	v_add_co_u32_e32 v4, vcc, v4, v9
	v_addc_co_u32_e32 v9, vcc, 0, v7, vcc
	v_mul_lo_u32 v10, s19, v4
	v_mul_lo_u32 v11, s18, v9
	v_mad_u64_u32 v[7:8], s[0:1], s18, v4, 0
	v_add3_u32 v8, v8, v11, v10
	v_sub_u32_e32 v10, v6, v8
	v_mov_b32_e32 v11, s19
	v_sub_co_u32_e32 v7, vcc, v5, v7
	v_subb_co_u32_e64 v10, s[0:1], v10, v11, vcc
	v_subrev_co_u32_e64 v11, s[0:1], s18, v7
	v_subbrev_co_u32_e64 v10, s[0:1], 0, v10, s[0:1]
	v_cmp_le_u32_e64 s[0:1], s19, v10
	v_cndmask_b32_e64 v12, 0, -1, s[0:1]
	v_cmp_le_u32_e64 s[0:1], s18, v11
	v_cndmask_b32_e64 v11, 0, -1, s[0:1]
	v_cmp_eq_u32_e64 s[0:1], s19, v10
	v_cndmask_b32_e64 v10, v12, v11, s[0:1]
	v_add_co_u32_e64 v11, s[0:1], 2, v4
	v_addc_co_u32_e64 v12, s[0:1], 0, v9, s[0:1]
	v_add_co_u32_e64 v13, s[0:1], 1, v4
	v_addc_co_u32_e64 v14, s[0:1], 0, v9, s[0:1]
	v_subb_co_u32_e32 v8, vcc, v6, v8, vcc
	v_cmp_ne_u32_e64 s[0:1], 0, v10
	v_cmp_le_u32_e32 vcc, s19, v8
	v_cndmask_b32_e64 v10, v14, v12, s[0:1]
	v_cndmask_b32_e64 v12, 0, -1, vcc
	v_cmp_le_u32_e32 vcc, s18, v7
	v_cndmask_b32_e64 v7, 0, -1, vcc
	v_cmp_eq_u32_e32 vcc, s19, v8
	v_cndmask_b32_e32 v7, v12, v7, vcc
	v_cmp_ne_u32_e32 vcc, 0, v7
	v_cndmask_b32_e64 v7, v13, v11, s[0:1]
	v_cndmask_b32_e32 v8, v9, v10, vcc
	v_cndmask_b32_e32 v7, v4, v7, vcc
.LBB0_4:                                ;   in Loop: Header=BB0_2 Depth=1
	s_andn2_saveexec_b64 s[0:1], s[20:21]
	s_cbranch_execz .LBB0_6
; %bb.5:                                ;   in Loop: Header=BB0_2 Depth=1
	v_cvt_f32_u32_e32 v4, s18
	s_sub_i32 s20, 0, s18
	v_rcp_iflag_f32_e32 v4, v4
	v_mul_f32_e32 v4, 0x4f7ffffe, v4
	v_cvt_u32_f32_e32 v4, v4
	v_mul_lo_u32 v7, s20, v4
	v_mul_hi_u32 v7, v4, v7
	v_add_u32_e32 v4, v4, v7
	v_mul_hi_u32 v4, v5, v4
	v_mul_lo_u32 v7, v4, s18
	v_add_u32_e32 v8, 1, v4
	v_sub_u32_e32 v7, v5, v7
	v_subrev_u32_e32 v9, s18, v7
	v_cmp_le_u32_e32 vcc, s18, v7
	v_cndmask_b32_e32 v7, v7, v9, vcc
	v_cndmask_b32_e32 v4, v4, v8, vcc
	v_add_u32_e32 v8, 1, v4
	v_cmp_le_u32_e32 vcc, s18, v7
	v_cndmask_b32_e32 v7, v4, v8, vcc
	v_mov_b32_e32 v8, v3
.LBB0_6:                                ;   in Loop: Header=BB0_2 Depth=1
	s_or_b64 exec, exec, s[0:1]
	v_mul_lo_u32 v4, v8, s18
	v_mul_lo_u32 v11, v7, s19
	v_mad_u64_u32 v[9:10], s[0:1], v7, s18, 0
	s_load_dwordx2 s[0:1], s[6:7], 0x0
	s_add_u32 s16, s16, 1
	v_add3_u32 v4, v10, v11, v4
	v_sub_co_u32_e32 v5, vcc, v5, v9
	v_subb_co_u32_e32 v4, vcc, v6, v4, vcc
	s_waitcnt lgkmcnt(0)
	v_mul_lo_u32 v4, s0, v4
	v_mul_lo_u32 v6, s1, v5
	v_mad_u64_u32 v[1:2], s[0:1], s0, v5, v[1:2]
	s_addc_u32 s17, s17, 0
	s_add_u32 s6, s6, 8
	v_add3_u32 v2, v6, v2, v4
	v_mov_b32_e32 v4, s10
	v_mov_b32_e32 v5, s11
	s_addc_u32 s7, s7, 0
	v_cmp_ge_u64_e32 vcc, s[16:17], v[4:5]
	s_add_u32 s14, s14, 8
	s_addc_u32 s15, s15, 0
	s_cbranch_vccnz .LBB0_9
; %bb.7:                                ;   in Loop: Header=BB0_2 Depth=1
	v_mov_b32_e32 v5, v7
	v_mov_b32_e32 v6, v8
	s_branch .LBB0_2
.LBB0_8:
	v_mov_b32_e32 v8, v6
	v_mov_b32_e32 v7, v5
.LBB0_9:
	s_lshl_b64 s[0:1], s[10:11], 3
	s_add_u32 s0, s12, s0
	s_addc_u32 s1, s13, s1
	s_load_dwordx2 s[6:7], s[0:1], 0x0
	s_load_dwordx2 s[10:11], s[4:5], 0x20
	s_waitcnt lgkmcnt(0)
	v_mad_u64_u32 v[1:2], s[0:1], s6, v7, v[1:2]
	s_mov_b32 s0, 0x539782a
	v_mul_lo_u32 v3, s6, v8
	v_mul_lo_u32 v4, s7, v7
	v_mul_hi_u32 v5, v0, s0
	v_cmp_gt_u64_e64 s[0:1], s[10:11], v[7:8]
	v_add3_u32 v2, v4, v2, v3
	v_mul_u32_u24_e32 v3, 49, v5
	v_sub_u32_e32 v4, v0, v3
	v_lshlrev_b64 v[2:3], 3, v[1:2]
	v_mov_b32_e32 v5, 0
	v_mov_b32_e32 v0, v4
	s_and_saveexec_b64 s[4:5], s[0:1]
	s_cbranch_execz .LBB0_13
; %bb.10:
	v_mov_b32_e32 v0, s3
	v_add_co_u32_e32 v1, vcc, s2, v2
	v_lshlrev_b64 v[6:7], 3, v[4:5]
	v_addc_co_u32_e32 v0, vcc, v0, v3, vcc
	v_add_co_u32_e32 v6, vcc, v1, v6
	v_addc_co_u32_e32 v7, vcc, v0, v7, vcc
	v_add_co_u32_e32 v18, vcc, 0x1000, v6
	global_load_dwordx2 v[8:9], v[6:7], off
	global_load_dwordx2 v[10:11], v[6:7], off offset:392
	global_load_dwordx2 v[12:13], v[6:7], off offset:784
	;; [unrolled: 1-line block ×4, first 2 shown]
	v_addc_co_u32_e32 v19, vcc, 0, v7, vcc
	global_load_dwordx2 v[20:21], v[6:7], off offset:3136
	global_load_dwordx2 v[22:23], v[6:7], off offset:3528
	;; [unrolled: 1-line block ×9, first 2 shown]
	v_lshl_add_u32 v6, v4, 3, 0
	v_add_u32_e32 v7, 0x800, v6
	v_add_u32_e32 v18, 0xc00, v6
	;; [unrolled: 1-line block ×3, first 2 shown]
	v_cmp_eq_u32_e32 vcc, 48, v4
	s_waitcnt vmcnt(12)
	ds_write2_b64 v6, v[8:9], v[10:11] offset1:49
	s_waitcnt vmcnt(10)
	ds_write2_b64 v6, v[12:13], v[14:15] offset0:98 offset1:147
	s_waitcnt vmcnt(4)
	ds_write2_b64 v7, v[28:29], v[16:17] offset0:38 offset1:87
	ds_write2_b64 v7, v[20:21], v[22:23] offset0:136 offset1:185
	s_waitcnt vmcnt(2)
	ds_write2_b64 v6, v[30:31], v[32:33] offset0:196 offset1:245
	;; [unrolled: 3-line block ×3, first 2 shown]
	v_mov_b32_e32 v6, v5
	v_mov_b32_e32 v5, v4
	s_and_saveexec_b64 s[6:7], vcc
	s_cbranch_execz .LBB0_12
; %bb.11:
	v_add_co_u32_e32 v4, vcc, 0x1000, v1
	v_addc_co_u32_e32 v5, vcc, 0, v0, vcc
	global_load_dwordx2 v[0:1], v[4:5], off offset:1392
	v_mov_b32_e32 v4, 0
	v_mov_b32_e32 v5, 48
	;; [unrolled: 1-line block ×3, first 2 shown]
	s_waitcnt vmcnt(0)
	ds_write_b64 v4, v[0:1] offset:5488
	v_mov_b32_e32 v4, 48
.LBB0_12:
	s_or_b64 exec, exec, s[6:7]
	v_mov_b32_e32 v0, v4
	v_mov_b32_e32 v4, v5
	;; [unrolled: 1-line block ×3, first 2 shown]
.LBB0_13:
	s_or_b64 exec, exec, s[4:5]
	v_lshlrev_b32_e32 v1, 3, v0
	v_add_u32_e32 v10, 0, v1
	s_waitcnt lgkmcnt(0)
	; wave barrier
	s_waitcnt lgkmcnt(0)
	v_sub_u32_e32 v12, 0, v1
	ds_read_b32 v1, v10
	ds_read_b32 v6, v12 offset:5488
	s_add_u32 s6, s8, 0x1538
	v_lshlrev_b64 v[4:5], 3, v[4:5]
	s_addc_u32 s7, s9, 0
	v_cmp_ne_u32_e32 vcc, 0, v0
	s_waitcnt lgkmcnt(0)
	v_add_f32_e32 v8, v6, v1
	v_sub_f32_e32 v9, v1, v6
	s_and_saveexec_b64 s[4:5], vcc
	s_xor_b64 s[4:5], exec, s[4:5]
	s_cbranch_execz .LBB0_15
; %bb.14:
	v_mov_b32_e32 v8, s7
	v_add_co_u32_e32 v7, vcc, s6, v4
	v_addc_co_u32_e32 v8, vcc, v8, v5, vcc
	global_load_dwordx2 v[7:8], v[7:8], off
	ds_read_b32 v9, v12 offset:5492
	ds_read_b32 v11, v10 offset:4
	v_add_f32_e32 v13, v6, v1
	v_sub_f32_e32 v1, v1, v6
	s_waitcnt lgkmcnt(0)
	v_add_f32_e32 v6, v9, v11
	v_sub_f32_e32 v11, v11, v9
	s_waitcnt vmcnt(0)
	v_fma_f32 v15, v1, v8, v13
	v_fma_f32 v13, -v1, v8, v13
	v_fma_f32 v14, v6, v8, -v11
	v_fma_f32 v9, v6, v8, v11
	v_fmac_f32_e32 v13, v7, v6
	v_fmac_f32_e32 v14, v1, v7
	v_fma_f32 v8, -v7, v6, v15
	v_fmac_f32_e32 v9, v1, v7
	ds_write_b64 v12, v[13:14] offset:5488
.LBB0_15:
	s_andn2_saveexec_b64 s[4:5], s[4:5]
	s_cbranch_execz .LBB0_17
; %bb.16:
	v_mov_b32_e32 v1, 0
	ds_read_b64 v[6:7], v1 offset:2744
	s_waitcnt lgkmcnt(0)
	v_add_f32_e32 v6, v6, v6
	v_mul_f32_e32 v7, -2.0, v7
	ds_write_b64 v1, v[6:7] offset:2744
.LBB0_17:
	s_or_b64 exec, exec, s[4:5]
	v_mov_b32_e32 v1, 0
	v_lshlrev_b64 v[6:7], 3, v[0:1]
	v_mov_b32_e32 v11, s7
	v_add_co_u32_e32 v13, vcc, s6, v6
	v_addc_co_u32_e32 v14, vcc, v11, v7, vcc
	global_load_dwordx2 v[15:16], v[13:14], off offset:392
	global_load_dwordx2 v[17:18], v[13:14], off offset:784
	;; [unrolled: 1-line block ×4, first 2 shown]
	ds_write_b64 v10, v[8:9]
	ds_read_b64 v[8:9], v10 offset:392
	ds_read_b64 v[23:24], v12 offset:5096
	global_load_dwordx2 v[25:26], v[13:14], off offset:1960
	s_mov_b32 s5, 0x3f5ff5aa
	s_mov_b32 s4, 0xbf3bfb3b
	v_mad_u32_u24 v50, v0, 48, v10
	s_waitcnt lgkmcnt(0)
	v_add_f32_e32 v11, v8, v23
	v_add_f32_e32 v27, v24, v9
	v_sub_f32_e32 v28, v8, v23
	v_sub_f32_e32 v23, v9, v24
	v_add_u32_e32 v51, 0xab8, v50
	s_mov_b32 s7, 0xbeae86e6
	s_mov_b32 s6, 0x3f3bfb3b
	v_add_co_u32_e32 v6, vcc, s8, v6
	s_waitcnt vmcnt(4)
	v_fma_f32 v29, v28, v16, v11
	v_fma_f32 v24, v27, v16, v23
	v_fma_f32 v8, -v28, v16, v11
	v_fma_f32 v9, v27, v16, -v23
	v_fma_f32 v23, -v15, v27, v29
	v_fmac_f32_e32 v24, v28, v15
	v_fmac_f32_e32 v8, v15, v27
	;; [unrolled: 1-line block ×3, first 2 shown]
	ds_write_b64 v10, v[23:24] offset:392
	ds_write_b64 v12, v[8:9] offset:5096
	ds_read_b64 v[8:9], v10 offset:784
	ds_read_b64 v[15:16], v12 offset:4704
	global_load_dwordx2 v[13:14], v[13:14], off offset:2352
	s_waitcnt lgkmcnt(0)
	v_add_f32_e32 v11, v8, v15
	v_add_f32_e32 v23, v16, v9
	v_sub_f32_e32 v24, v8, v15
	v_sub_f32_e32 v15, v9, v16
	s_waitcnt vmcnt(4)
	v_fma_f32 v27, v24, v18, v11
	v_fma_f32 v16, v23, v18, v15
	v_fma_f32 v8, -v24, v18, v11
	v_fma_f32 v9, v23, v18, -v15
	v_fma_f32 v15, -v17, v23, v27
	v_fmac_f32_e32 v16, v24, v17
	v_fmac_f32_e32 v8, v17, v23
	v_fmac_f32_e32 v9, v24, v17
	ds_write_b64 v10, v[15:16] offset:784
	ds_write_b64 v12, v[8:9] offset:4704
	ds_read_b64 v[8:9], v10 offset:1176
	ds_read_b64 v[15:16], v12 offset:4312
	s_waitcnt lgkmcnt(0)
	v_add_f32_e32 v11, v8, v15
	v_add_f32_e32 v17, v16, v9
	v_sub_f32_e32 v18, v8, v15
	v_sub_f32_e32 v15, v9, v16
	s_waitcnt vmcnt(3)
	v_fma_f32 v23, v18, v20, v11
	v_fma_f32 v16, v17, v20, v15
	v_fma_f32 v8, -v18, v20, v11
	v_fma_f32 v9, v17, v20, -v15
	v_fma_f32 v15, -v19, v17, v23
	v_fmac_f32_e32 v16, v18, v19
	v_fmac_f32_e32 v8, v19, v17
	v_fmac_f32_e32 v9, v18, v19
	ds_write_b64 v10, v[15:16] offset:1176
	ds_write_b64 v12, v[8:9] offset:4312
	ds_read_b64 v[8:9], v10 offset:1568
	ds_read_b64 v[15:16], v12 offset:3920
	;; [unrolled: 18-line block ×4, first 2 shown]
	v_add_u32_e32 v8, 0x1000, v10
	v_add_u32_e32 v9, 0xc00, v10
	;; [unrolled: 1-line block ×3, first 2 shown]
	s_waitcnt lgkmcnt(0)
	v_add_f32_e32 v19, v15, v17
	v_add_f32_e32 v20, v18, v16
	v_sub_f32_e32 v21, v15, v17
	v_sub_f32_e32 v17, v16, v18
	s_waitcnt vmcnt(0)
	v_fma_f32 v18, v21, v14, v19
	v_fma_f32 v15, v20, v14, v17
	v_fma_f32 v16, -v21, v14, v19
	v_fma_f32 v17, v20, v14, -v17
	v_fma_f32 v14, -v13, v20, v18
	v_fmac_f32_e32 v15, v21, v13
	v_fmac_f32_e32 v16, v13, v20
	v_fmac_f32_e32 v17, v21, v13
	ds_write_b64 v10, v[14:15] offset:2352
	ds_write_b64 v12, v[16:17] offset:3136
	s_waitcnt lgkmcnt(0)
	; wave barrier
	s_waitcnt lgkmcnt(0)
	s_waitcnt lgkmcnt(0)
	; wave barrier
	s_waitcnt lgkmcnt(0)
	ds_read2_b64 v[12:15], v10 offset0:98 offset1:147
	ds_read2_b64 v[16:19], v8 offset0:76 offset1:125
	;; [unrolled: 1-line block ×6, first 2 shown]
	s_waitcnt lgkmcnt(4)
	v_add_f32_e32 v36, v12, v16
	v_add_f32_e32 v37, v13, v17
	v_sub_f32_e32 v38, v12, v16
	v_sub_f32_e32 v39, v13, v17
	v_add_f32_e32 v12, v14, v18
	v_add_f32_e32 v13, v15, v19
	v_sub_f32_e32 v14, v14, v18
	v_sub_f32_e32 v16, v15, v19
	s_waitcnt lgkmcnt(2)
	v_add_f32_e32 v18, v20, v24
	v_sub_f32_e32 v20, v20, v24
	v_add_f32_e32 v15, v22, v26
	v_add_f32_e32 v17, v23, v27
	v_sub_f32_e32 v22, v22, v26
	s_waitcnt lgkmcnt(0)
	v_add_f32_e32 v24, v28, v32
	v_sub_f32_e32 v26, v32, v28
	v_add_f32_e32 v28, v30, v34
	v_add_f32_e32 v19, v21, v25
	v_sub_f32_e32 v21, v21, v25
	v_sub_f32_e32 v23, v23, v27
	v_add_f32_e32 v25, v29, v33
	v_sub_f32_e32 v27, v33, v29
	v_add_f32_e32 v29, v31, v35
	;; [unrolled: 2-line block ×3, first 2 shown]
	v_sub_f32_e32 v33, v15, v12
	v_sub_f32_e32 v34, v12, v28
	v_add_f32_e32 v12, v17, v13
	v_sub_f32_e32 v31, v35, v31
	v_sub_f32_e32 v35, v28, v15
	v_add_f32_e32 v28, v28, v32
	;; [unrolled: 3-line block ×3, first 2 shown]
	v_add_f32_e32 v12, v30, v22
	v_sub_f32_e32 v40, v13, v29
	v_sub_f32_e32 v29, v30, v22
	;; [unrolled: 1-line block ×4, first 2 shown]
	v_add_f32_e32 v42, v12, v14
	ds_read2_b64 v[12:15], v10 offset1:49
	v_add_f32_e32 v43, v31, v23
	v_sub_f32_e32 v44, v31, v23
	v_sub_f32_e32 v31, v16, v31
	;; [unrolled: 1-line block ×3, first 2 shown]
	s_waitcnt lgkmcnt(0)
	v_add_f32_e32 v14, v14, v28
	v_mov_b32_e32 v45, v14
	v_add_f32_e32 v15, v15, v17
	v_fmac_f32_e32 v45, 0xbf955555, v28
	v_mov_b32_e32 v28, v15
	v_add_f32_e32 v43, v43, v16
	v_fmac_f32_e32 v28, 0xbf955555, v17
	v_mul_f32_e32 v16, 0x3f4a47b2, v34
	v_mul_f32_e32 v17, 0x3f4a47b2, v40
	;; [unrolled: 1-line block ×4, first 2 shown]
	v_fma_f32 v40, v33, s4, -v16
	v_fmac_f32_e32 v16, 0x3d64c772, v35
	v_fma_f32 v44, v32, s4, -v17
	v_fmac_f32_e32 v17, 0x3d64c772, v41
	v_fma_f32 v46, v22, s5, -v29
	v_fmac_f32_e32 v29, 0x3eae86e6, v30
	v_fma_f32 v47, v23, s5, -v34
	v_fmac_f32_e32 v34, 0x3eae86e6, v31
	v_add_f32_e32 v48, v16, v45
	v_add_f32_e32 v49, v17, v28
	v_fmac_f32_e32 v29, 0x3ee1c552, v42
	v_fmac_f32_e32 v34, 0x3ee1c552, v43
	v_add_f32_e32 v16, v48, v34
	v_sub_f32_e32 v17, v49, v29
	s_waitcnt lgkmcnt(0)
	; wave barrier
	ds_write2_b64 v51, v[14:15], v[16:17] offset1:1
	v_mul_f32_e32 v16, 0x3f5ff5aa, v22
	v_mul_f32_e32 v14, 0x3d64c772, v35
	;; [unrolled: 1-line block ×3, first 2 shown]
	v_fma_f32 v22, v30, s7, -v16
	v_mul_f32_e32 v16, 0x3f5ff5aa, v23
	v_fma_f32 v14, v33, s6, -v14
	v_fma_f32 v15, v32, s6, -v15
	v_fma_f32 v23, v31, s7, -v16
	v_add_f32_e32 v30, v14, v45
	v_add_f32_e32 v31, v40, v45
	;; [unrolled: 1-line block ×4, first 2 shown]
	v_fmac_f32_e32 v46, 0x3ee1c552, v42
	v_fmac_f32_e32 v22, 0x3ee1c552, v42
	;; [unrolled: 1-line block ×4, first 2 shown]
	v_add_f32_e32 v14, v23, v31
	v_sub_f32_e32 v15, v28, v22
	v_sub_f32_e32 v16, v30, v47
	v_add_f32_e32 v17, v46, v32
	v_add_u32_e32 v33, 0xac8, v50
	ds_write2_b64 v33, v[14:15], v[16:17] offset1:1
	v_add_f32_e32 v14, v18, v36
	v_add_f32_e32 v15, v19, v37
	;; [unrolled: 1-line block ×6, first 2 shown]
	v_sub_f32_e32 v16, v18, v36
	v_sub_f32_e32 v17, v36, v24
	;; [unrolled: 1-line block ×6, first 2 shown]
	v_add_f32_e32 v25, v26, v20
	v_add_f32_e32 v36, v27, v21
	v_sub_f32_e32 v35, v26, v20
	v_sub_f32_e32 v26, v38, v26
	;; [unrolled: 1-line block ×3, first 2 shown]
	v_add_f32_e32 v25, v25, v38
	v_sub_f32_e32 v37, v27, v21
	v_sub_f32_e32 v27, v39, v27
	;; [unrolled: 1-line block ×3, first 2 shown]
	v_add_f32_e32 v36, v36, v39
	v_mov_b32_e32 v38, v12
	v_mov_b32_e32 v39, v13
	v_fmac_f32_e32 v38, 0xbf955555, v14
	v_fmac_f32_e32 v39, 0xbf955555, v15
	v_mul_f32_e32 v14, 0x3f4a47b2, v17
	v_mul_f32_e32 v15, 0x3f4a47b2, v33
	;; [unrolled: 1-line block ×4, first 2 shown]
	v_fma_f32 v35, v16, s4, -v14
	v_fmac_f32_e32 v14, 0x3d64c772, v18
	v_fma_f32 v37, v24, s4, -v15
	v_fmac_f32_e32 v15, 0x3d64c772, v19
	v_fma_f32 v40, v20, s5, -v17
	v_fmac_f32_e32 v17, 0x3eae86e6, v26
	v_fma_f32 v41, v21, s5, -v33
	v_fmac_f32_e32 v33, 0x3eae86e6, v27
	v_add_f32_e32 v42, v14, v38
	v_add_f32_e32 v43, v15, v39
	v_fmac_f32_e32 v17, 0x3ee1c552, v25
	v_fmac_f32_e32 v33, 0x3ee1c552, v36
	v_add_f32_e32 v14, v42, v33
	v_sub_f32_e32 v15, v43, v17
	ds_write2_b64 v50, v[12:13], v[14:15] offset1:1
	v_mul_f32_e32 v12, 0x3d64c772, v18
	v_mul_f32_e32 v14, 0x3f5ff5aa, v20
	v_fma_f32 v12, v16, s6, -v12
	v_mul_f32_e32 v13, 0x3d64c772, v19
	v_fma_f32 v16, v26, s7, -v14
	;; [unrolled: 2-line block ×3, first 2 shown]
	v_fma_f32 v18, v27, s7, -v14
	v_add_f32_e32 v19, v12, v38
	v_add_f32_e32 v20, v35, v38
	;; [unrolled: 1-line block ×4, first 2 shown]
	v_fmac_f32_e32 v40, 0x3ee1c552, v25
	v_fmac_f32_e32 v16, 0x3ee1c552, v25
	;; [unrolled: 1-line block ×4, first 2 shown]
	v_add_f32_e32 v12, v18, v20
	v_sub_f32_e32 v13, v24, v16
	v_sub_f32_e32 v14, v19, v41
	v_add_f32_e32 v15, v40, v21
	ds_write2_b64 v50, v[12:13], v[14:15] offset0:2 offset1:3
	v_add_f32_e32 v12, v41, v19
	v_sub_f32_e32 v13, v21, v40
	v_sub_f32_e32 v14, v20, v18
	v_add_f32_e32 v15, v16, v24
	ds_write2_b64 v50, v[12:13], v[14:15] offset0:4 offset1:5
	v_sub_f32_e32 v12, v42, v33
	v_add_f32_e32 v13, v17, v43
	v_add_f32_e32 v14, v47, v30
	v_sub_f32_e32 v15, v32, v46
	v_sub_f32_e32 v16, v31, v23
	v_add_f32_e32 v17, v22, v28
	ds_write_b64 v50, v[12:13] offset:48
	v_add_u32_e32 v12, 0xad8, v50
	v_sub_f32_e32 v18, v48, v34
	v_add_f32_e32 v19, v29, v49
	ds_write2_b64 v12, v[14:15], v[16:17] offset1:1
	ds_write_b64 v50, v[18:19] offset:2792
	v_mov_b32_e32 v12, 37
	v_mul_lo_u16_sdwa v13, v0, v12 dst_sel:DWORD dst_unused:UNUSED_PAD src0_sel:BYTE_0 src1_sel:DWORD
	v_sub_u16_sdwa v14, v0, v13 dst_sel:DWORD dst_unused:UNUSED_PAD src0_sel:DWORD src1_sel:BYTE_1
	v_lshrrev_b16_e32 v14, 1, v14
	v_and_b32_e32 v14, 0x7f, v14
	v_add_u16_sdwa v13, v14, v13 dst_sel:DWORD dst_unused:UNUSED_PAD src0_sel:DWORD src1_sel:BYTE_1
	v_lshrrev_b16_e32 v44, 2, v13
	v_mul_lo_u16_e32 v13, 7, v44
	v_add_u16_e32 v17, 49, v0
	v_sub_u16_e32 v45, v0, v13
	v_mov_b32_e32 v16, 6
	v_mul_lo_u16_sdwa v18, v17, v12 dst_sel:DWORD dst_unused:UNUSED_PAD src0_sel:BYTE_0 src1_sel:DWORD
	v_mul_u32_u24_sdwa v13, v45, v16 dst_sel:DWORD dst_unused:UNUSED_PAD src0_sel:BYTE_0 src1_sel:DWORD
	v_sub_u16_sdwa v12, v17, v18 dst_sel:DWORD dst_unused:UNUSED_PAD src0_sel:DWORD src1_sel:BYTE_1
	v_lshlrev_b32_e32 v36, 3, v13
	v_lshrrev_b16_e32 v19, 1, v12
	s_waitcnt lgkmcnt(0)
	; wave barrier
	s_waitcnt lgkmcnt(0)
	global_load_dwordx4 v[12:15], v36, s[8:9]
	v_and_b32_e32 v19, 0x7f, v19
	v_add_u16_sdwa v18, v19, v18 dst_sel:DWORD dst_unused:UNUSED_PAD src0_sel:DWORD src1_sel:BYTE_1
	v_lshrrev_b16_e32 v46, 2, v18
	v_mul_lo_u16_e32 v18, 7, v46
	v_sub_u16_e32 v47, v17, v18
	v_mul_u32_u24_sdwa v16, v47, v16 dst_sel:DWORD dst_unused:UNUSED_PAD src0_sel:BYTE_0 src1_sel:DWORD
	v_lshlrev_b32_e32 v37, 3, v16
	global_load_dwordx4 v[16:19], v37, s[8:9]
	global_load_dwordx4 v[20:23], v36, s[8:9] offset:16
	global_load_dwordx4 v[24:27], v37, s[8:9] offset:16
	;; [unrolled: 1-line block ×4, first 2 shown]
	ds_read2_b64 v[36:39], v10 offset0:98 offset1:147
	ds_read2_b64 v[40:43], v10 offset0:196 offset1:245
	s_waitcnt vmcnt(5) lgkmcnt(1)
	v_mul_f32_e32 v48, v13, v37
	v_fma_f32 v48, v12, v36, -v48
	v_mul_f32_e32 v36, v13, v36
	v_fmac_f32_e32 v36, v12, v37
	s_waitcnt lgkmcnt(0)
	v_mul_f32_e32 v12, v15, v41
	v_fma_f32 v37, v14, v40, -v12
	v_mul_f32_e32 v40, v15, v40
	s_waitcnt vmcnt(4)
	v_mul_f32_e32 v12, v39, v17
	v_fmac_f32_e32 v40, v14, v41
	v_fma_f32 v41, v38, v16, -v12
	v_mul_f32_e32 v38, v38, v17
	v_fmac_f32_e32 v38, v39, v16
	v_mul_f32_e32 v16, v43, v19
	ds_read2_b64 v[12:15], v11 offset0:38 offset1:87
	v_fma_f32 v39, v42, v18, -v16
	v_mul_f32_e32 v42, v42, v19
	v_fmac_f32_e32 v42, v43, v18
	ds_read2_b64 v[16:19], v11 offset0:136 offset1:185
	s_waitcnt vmcnt(3) lgkmcnt(1)
	v_mul_f32_e32 v43, v21, v13
	v_fma_f32 v43, v20, v12, -v43
	v_mul_f32_e32 v21, v21, v12
	v_fmac_f32_e32 v21, v20, v13
	s_waitcnt lgkmcnt(0)
	v_mul_f32_e32 v12, v23, v17
	v_fma_f32 v20, v22, v16, -v12
	v_mul_f32_e32 v23, v23, v16
	s_waitcnt vmcnt(2)
	v_mul_f32_e32 v12, v15, v25
	v_mul_f32_e32 v25, v14, v25
	v_fmac_f32_e32 v23, v22, v17
	v_fma_f32 v22, v14, v24, -v12
	v_fmac_f32_e32 v25, v15, v24
	v_mul_f32_e32 v16, v19, v27
	ds_read2_b64 v[12:15], v9 offset0:106 offset1:155
	v_mul_f32_e32 v27, v18, v27
	v_fma_f32 v24, v18, v26, -v16
	v_fmac_f32_e32 v27, v19, v26
	ds_read2_b64 v[16:19], v8 offset0:76 offset1:125
	s_waitcnt vmcnt(1) lgkmcnt(1)
	v_mul_f32_e32 v26, v13, v29
	v_fma_f32 v26, v12, v28, -v26
	v_mul_f32_e32 v29, v12, v29
	v_fmac_f32_e32 v29, v13, v28
	s_waitcnt lgkmcnt(0)
	v_mul_f32_e32 v12, v17, v31
	v_fma_f32 v28, v16, v30, -v12
	v_mul_f32_e32 v16, v16, v31
	s_waitcnt vmcnt(0)
	v_mul_f32_e32 v12, v15, v33
	v_fmac_f32_e32 v16, v17, v30
	v_fma_f32 v30, v14, v32, -v12
	v_mul_f32_e32 v31, v14, v33
	v_mul_f32_e32 v12, v19, v35
	v_fmac_f32_e32 v31, v15, v32
	v_fma_f32 v32, v18, v34, -v12
	v_mul_f32_e32 v18, v18, v35
	v_fmac_f32_e32 v18, v19, v34
	v_add_f32_e32 v17, v48, v28
	v_add_f32_e32 v19, v37, v26
	;; [unrolled: 1-line block ×5, first 2 shown]
	ds_read2_b64 v[12:15], v10 offset1:49
	v_sub_f32_e32 v26, v37, v26
	v_sub_f32_e32 v20, v20, v43
	v_add_f32_e32 v35, v36, v16
	v_add_f32_e32 v49, v40, v29
	;; [unrolled: 1-line block ×3, first 2 shown]
	v_sub_f32_e32 v28, v48, v28
	v_sub_f32_e32 v29, v40, v29
	;; [unrolled: 1-line block ×3, first 2 shown]
	v_add_f32_e32 v37, v20, v26
	v_add_f32_e32 v51, v49, v35
	v_sub_f32_e32 v16, v36, v16
	v_sub_f32_e32 v40, v20, v26
	;; [unrolled: 1-line block ×4, first 2 shown]
	v_add_f32_e32 v28, v37, v28
	v_add_f32_e32 v37, v21, v29
	;; [unrolled: 1-line block ×3, first 2 shown]
	s_waitcnt lgkmcnt(0)
	v_add_f32_e32 v12, v34, v12
	v_sub_f32_e32 v43, v21, v29
	v_sub_f32_e32 v21, v16, v21
	;; [unrolled: 1-line block ×3, first 2 shown]
	v_add_f32_e32 v37, v37, v16
	v_mul_u32_u24_e32 v16, 0x188, v44
	v_mov_b32_e32 v44, 3
	v_add_f32_e32 v13, v51, v13
	v_sub_f32_e32 v23, v19, v17
	v_sub_f32_e32 v17, v17, v33
	;; [unrolled: 1-line block ×5, first 2 shown]
	v_mov_b32_e32 v48, v12
	v_lshlrev_b32_sdwa v45, v44, v45 dst_sel:DWORD dst_unused:UNUSED_PAD src0_sel:DWORD src1_sel:BYTE_0
	v_sub_f32_e32 v36, v50, v49
	v_fmac_f32_e32 v48, 0xbf955555, v34
	v_mov_b32_e32 v34, v13
	v_add3_u32 v45, 0, v16, v45
	v_mul_f32_e32 v16, 0x3f4a47b2, v17
	v_mul_f32_e32 v17, 0x3f4a47b2, v35
	;; [unrolled: 1-line block ×4, first 2 shown]
	v_fmac_f32_e32 v34, 0xbf955555, v51
	v_fma_f32 v43, v23, s4, -v16
	v_fmac_f32_e32 v16, 0x3d64c772, v19
	v_fma_f32 v49, v33, s4, -v17
	v_fmac_f32_e32 v17, 0x3d64c772, v36
	v_fma_f32 v50, v26, s5, -v35
	v_fmac_f32_e32 v35, 0x3eae86e6, v20
	v_fma_f32 v51, v29, s5, -v40
	v_fmac_f32_e32 v40, 0x3eae86e6, v21
	v_add_f32_e32 v60, v16, v48
	v_add_f32_e32 v61, v17, v34
	v_fmac_f32_e32 v35, 0x3ee1c552, v28
	v_fmac_f32_e32 v40, 0x3ee1c552, v37
	v_add_f32_e32 v16, v40, v60
	v_sub_f32_e32 v17, v61, v35
	s_waitcnt lgkmcnt(0)
	; wave barrier
	ds_write2_b64 v45, v[12:13], v[16:17] offset1:7
	v_mul_f32_e32 v16, 0x3f5ff5aa, v26
	v_mul_f32_e32 v12, 0x3d64c772, v19
	v_mul_f32_e32 v13, 0x3d64c772, v36
	v_fma_f32 v19, v20, s7, -v16
	v_mul_f32_e32 v16, 0x3f5ff5aa, v29
	v_fma_f32 v12, v23, s6, -v12
	v_fma_f32 v13, v33, s6, -v13
	;; [unrolled: 1-line block ×3, first 2 shown]
	v_add_f32_e32 v21, v12, v48
	v_add_f32_e32 v23, v43, v48
	;; [unrolled: 1-line block ×4, first 2 shown]
	v_fmac_f32_e32 v50, 0x3ee1c552, v28
	v_fmac_f32_e32 v19, 0x3ee1c552, v28
	;; [unrolled: 1-line block ×4, first 2 shown]
	v_add_f32_e32 v12, v20, v23
	v_sub_f32_e32 v13, v29, v19
	v_sub_f32_e32 v16, v21, v51
	v_add_f32_e32 v17, v50, v26
	ds_write2_b64 v45, v[12:13], v[16:17] offset0:14 offset1:21
	v_add_f32_e32 v12, v51, v21
	v_sub_f32_e32 v13, v26, v50
	v_sub_f32_e32 v16, v23, v20
	v_add_f32_e32 v17, v19, v29
	ds_write2_b64 v45, v[12:13], v[16:17] offset0:28 offset1:35
	v_sub_f32_e32 v12, v60, v40
	v_add_f32_e32 v13, v35, v61
	v_add_f32_e32 v52, v41, v32
	;; [unrolled: 1-line block ×5, first 2 shown]
	ds_write_b64 v45, v[12:13] offset:336
	v_sub_f32_e32 v13, v38, v18
	v_sub_f32_e32 v16, v39, v30
	;; [unrolled: 1-line block ×3, first 2 shown]
	v_add_f32_e32 v54, v22, v24
	v_add_f32_e32 v55, v53, v52
	;; [unrolled: 1-line block ×4, first 2 shown]
	v_sub_f32_e32 v12, v41, v32
	v_sub_f32_e32 v17, v42, v31
	;; [unrolled: 1-line block ×3, first 2 shown]
	v_add_f32_e32 v26, v18, v16
	v_add_f32_e32 v55, v54, v55
	;; [unrolled: 1-line block ×3, first 2 shown]
	v_sub_f32_e32 v27, v18, v16
	v_sub_f32_e32 v18, v12, v18
	;; [unrolled: 1-line block ×3, first 2 shown]
	v_add_f32_e32 v26, v26, v12
	v_add_f32_e32 v12, v19, v17
	;; [unrolled: 1-line block ×4, first 2 shown]
	v_sub_f32_e32 v21, v52, v54
	v_sub_f32_e32 v24, v56, v58
	;; [unrolled: 1-line block ×5, first 2 shown]
	v_add_f32_e32 v29, v12, v13
	v_lshlrev_b32_sdwa v12, v44, v47 dst_sel:DWORD dst_unused:UNUSED_PAD src0_sel:DWORD src1_sel:BYTE_0
	v_mul_u32_u24_e32 v13, 0x188, v46
	v_sub_f32_e32 v20, v53, v52
	v_sub_f32_e32 v22, v54, v53
	;; [unrolled: 1-line block ×4, first 2 shown]
	v_mov_b32_e32 v30, v14
	v_mov_b32_e32 v31, v15
	v_add3_u32 v32, 0, v13, v12
	v_mul_f32_e32 v12, 0x3f4a47b2, v21
	v_mul_f32_e32 v13, 0x3f4a47b2, v24
	;; [unrolled: 1-line block ×4, first 2 shown]
	v_fmac_f32_e32 v30, 0xbf955555, v55
	v_fmac_f32_e32 v31, 0xbf955555, v59
	v_fma_f32 v27, v20, s4, -v12
	v_fmac_f32_e32 v12, 0x3d64c772, v22
	v_fma_f32 v28, v23, s4, -v13
	;; [unrolled: 2-line block ×4, first 2 shown]
	v_fmac_f32_e32 v24, 0x3eae86e6, v19
	v_add_f32_e32 v35, v12, v30
	v_add_f32_e32 v36, v13, v31
	v_fmac_f32_e32 v21, 0x3ee1c552, v26
	v_fmac_f32_e32 v24, 0x3ee1c552, v29
	v_add_f32_e32 v12, v24, v35
	v_sub_f32_e32 v13, v36, v21
	ds_write2_b64 v32, v[14:15], v[12:13] offset1:7
	v_mul_f32_e32 v14, 0x3f5ff5aa, v16
	v_mul_f32_e32 v12, 0x3d64c772, v22
	;; [unrolled: 1-line block ×3, first 2 shown]
	v_fma_f32 v16, v18, s7, -v14
	v_mul_f32_e32 v14, 0x3f5ff5aa, v17
	v_fma_f32 v12, v20, s6, -v12
	v_fma_f32 v13, v23, s6, -v13
	;; [unrolled: 1-line block ×3, first 2 shown]
	v_add_f32_e32 v18, v12, v30
	v_add_f32_e32 v19, v27, v30
	;; [unrolled: 1-line block ×4, first 2 shown]
	v_fmac_f32_e32 v33, 0x3ee1c552, v26
	v_fmac_f32_e32 v16, 0x3ee1c552, v26
	;; [unrolled: 1-line block ×4, first 2 shown]
	v_add_f32_e32 v12, v17, v19
	v_sub_f32_e32 v13, v22, v16
	v_sub_f32_e32 v14, v18, v34
	v_add_f32_e32 v15, v33, v20
	ds_write2_b64 v32, v[12:13], v[14:15] offset0:14 offset1:21
	v_add_f32_e32 v12, v34, v18
	v_sub_f32_e32 v13, v20, v33
	v_sub_f32_e32 v14, v19, v17
	v_add_f32_e32 v15, v16, v22
	v_sub_f32_e32 v16, v35, v24
	v_add_f32_e32 v17, v21, v36
	ds_write2_b64 v32, v[12:13], v[14:15] offset0:28 offset1:35
	ds_write_b64 v32, v[16:17] offset:336
	v_mul_u32_u24_e32 v12, 6, v0
	v_lshlrev_b32_e32 v24, 3, v12
	s_waitcnt lgkmcnt(0)
	; wave barrier
	s_waitcnt lgkmcnt(0)
	global_load_dwordx4 v[12:15], v24, s[8:9] offset:336
	global_load_dwordx4 v[16:19], v24, s[8:9] offset:352
	;; [unrolled: 1-line block ×3, first 2 shown]
	ds_read2_b64 v[24:27], v10 offset0:98 offset1:147
	s_waitcnt vmcnt(2) lgkmcnt(0)
	v_mul_f32_e32 v28, v13, v25
	v_fma_f32 v32, v12, v24, -v28
	ds_read2_b64 v[28:31], v10 offset0:196 offset1:245
	v_mul_f32_e32 v33, v13, v24
	v_mul_f32_e32 v24, v27, v13
	;; [unrolled: 1-line block ×3, first 2 shown]
	v_fmac_f32_e32 v33, v12, v25
	v_fma_f32 v34, v26, v12, -v24
	v_fmac_f32_e32 v35, v27, v12
	ds_read2_b64 v[24:27], v11 offset0:38 offset1:87
	s_waitcnt lgkmcnt(1)
	v_mul_f32_e32 v12, v15, v29
	v_fma_f32 v36, v14, v28, -v12
	v_mul_f32_e32 v28, v15, v28
	v_mul_f32_e32 v12, v31, v15
	v_fmac_f32_e32 v28, v14, v29
	v_fma_f32 v29, v30, v14, -v12
	v_mul_f32_e32 v30, v30, v15
	s_waitcnt vmcnt(1) lgkmcnt(0)
	v_mul_f32_e32 v12, v17, v25
	v_fmac_f32_e32 v30, v31, v14
	v_fma_f32 v31, v16, v24, -v12
	ds_read2_b64 v[12:15], v11 offset0:136 offset1:185
	v_mul_f32_e32 v37, v17, v24
	v_mul_f32_e32 v24, v27, v17
	v_mul_f32_e32 v39, v26, v17
	v_fmac_f32_e32 v37, v16, v25
	v_fma_f32 v38, v26, v16, -v24
	v_fmac_f32_e32 v39, v27, v16
	ds_read2_b64 v[24:27], v9 offset0:106 offset1:155
	s_waitcnt lgkmcnt(1)
	v_mul_f32_e32 v16, v19, v13
	v_fma_f32 v16, v18, v12, -v16
	v_mul_f32_e32 v17, v19, v12
	v_mul_f32_e32 v12, v15, v19
	v_fma_f32 v40, v14, v18, -v12
	v_mul_f32_e32 v19, v14, v19
	s_waitcnt vmcnt(0) lgkmcnt(0)
	v_mul_f32_e32 v12, v21, v25
	v_fmac_f32_e32 v17, v18, v13
	v_fmac_f32_e32 v19, v15, v18
	v_fma_f32 v18, v20, v24, -v12
	ds_read2_b64 v[12:15], v8 offset0:76 offset1:125
	v_mul_f32_e32 v24, v21, v24
	v_fmac_f32_e32 v24, v20, v25
	v_mul_f32_e32 v25, v27, v21
	v_mul_f32_e32 v21, v26, v21
	v_fma_f32 v25, v26, v20, -v25
	v_fmac_f32_e32 v21, v27, v20
	s_waitcnt lgkmcnt(0)
	v_mul_f32_e32 v20, v13, v23
	v_fma_f32 v20, v12, v22, -v20
	v_mul_f32_e32 v26, v12, v23
	v_mul_f32_e32 v12, v15, v23
	;; [unrolled: 1-line block ×3, first 2 shown]
	v_fmac_f32_e32 v26, v13, v22
	v_fma_f32 v27, v14, v22, -v12
	v_fmac_f32_e32 v23, v15, v22
	v_add_f32_e32 v22, v32, v20
	v_add_f32_e32 v41, v36, v18
	;; [unrolled: 1-line block ×5, first 2 shown]
	ds_read2_b64 v[12:15], v10 offset1:49
	v_add_f32_e32 v44, v33, v26
	v_add_f32_e32 v45, v28, v24
	;; [unrolled: 1-line block ×4, first 2 shown]
	v_sub_f32_e32 v18, v36, v18
	v_sub_f32_e32 v16, v16, v31
	v_add_f32_e32 v47, v46, v47
	s_waitcnt lgkmcnt(0)
	v_add_f32_e32 v12, v43, v12
	v_sub_f32_e32 v20, v32, v20
	v_sub_f32_e32 v24, v28, v24
	;; [unrolled: 1-line block ×3, first 2 shown]
	v_add_f32_e32 v37, v16, v18
	v_add_f32_e32 v13, v47, v13
	v_sub_f32_e32 v26, v33, v26
	v_sub_f32_e32 v28, v41, v22
	v_sub_f32_e32 v22, v22, v42
	v_sub_f32_e32 v31, v42, v41
	v_sub_f32_e32 v32, v45, v44
	v_sub_f32_e32 v33, v44, v46
	v_sub_f32_e32 v36, v46, v45
	v_sub_f32_e32 v41, v16, v18
	v_sub_f32_e32 v42, v20, v16
	v_sub_f32_e32 v18, v18, v20
	v_add_f32_e32 v20, v37, v20
	v_add_f32_e32 v16, v17, v24
	v_sub_f32_e32 v37, v17, v24
	v_mov_b32_e32 v45, v12
	v_sub_f32_e32 v44, v26, v17
	v_sub_f32_e32 v24, v24, v26
	v_add_f32_e32 v26, v16, v26
	v_fmac_f32_e32 v45, 0xbf955555, v43
	v_mov_b32_e32 v43, v13
	v_mul_f32_e32 v16, 0x3f4a47b2, v22
	v_mul_f32_e32 v17, 0x3f4a47b2, v33
	;; [unrolled: 1-line block ×4, first 2 shown]
	v_fmac_f32_e32 v43, 0xbf955555, v47
	v_fma_f32 v37, v28, s4, -v16
	v_fmac_f32_e32 v16, 0x3d64c772, v31
	v_fma_f32 v41, v32, s4, -v17
	;; [unrolled: 2-line block ×4, first 2 shown]
	v_fmac_f32_e32 v33, 0x3eae86e6, v44
	v_add_f32_e32 v56, v16, v45
	v_add_f32_e32 v57, v17, v43
	v_fmac_f32_e32 v22, 0x3ee1c552, v20
	v_fmac_f32_e32 v33, 0x3ee1c552, v26
	v_add_f32_e32 v16, v33, v56
	v_sub_f32_e32 v17, v57, v22
	s_waitcnt lgkmcnt(0)
	; wave barrier
	ds_write2_b64 v10, v[12:13], v[16:17] offset1:49
	v_mul_f32_e32 v16, 0x3f5ff5aa, v18
	v_mul_f32_e32 v12, 0x3d64c772, v31
	;; [unrolled: 1-line block ×3, first 2 shown]
	v_fma_f32 v18, v42, s7, -v16
	v_mul_f32_e32 v16, 0x3f5ff5aa, v24
	v_fma_f32 v12, v28, s6, -v12
	v_fma_f32 v13, v32, s6, -v13
	;; [unrolled: 1-line block ×3, first 2 shown]
	v_add_f32_e32 v48, v34, v27
	v_add_f32_e32 v49, v29, v25
	;; [unrolled: 1-line block ×8, first 2 shown]
	v_fmac_f32_e32 v46, 0x3ee1c552, v20
	v_fmac_f32_e32 v18, 0x3ee1c552, v20
	;; [unrolled: 1-line block ×4, first 2 shown]
	v_add_f32_e32 v50, v38, v40
	v_add_f32_e32 v51, v49, v48
	;; [unrolled: 1-line block ×5, first 2 shown]
	v_sub_f32_e32 v13, v36, v18
	v_sub_f32_e32 v16, v28, v47
	v_add_f32_e32 v17, v46, v32
	v_add_f32_e32 v51, v50, v51
	;; [unrolled: 1-line block ×3, first 2 shown]
	ds_write2_b64 v10, v[12:13], v[16:17] offset0:98 offset1:147
	v_add_f32_e32 v12, v47, v28
	v_sub_f32_e32 v13, v32, v46
	v_sub_f32_e32 v16, v31, v24
	v_add_f32_e32 v17, v18, v36
	v_add_f32_e32 v14, v51, v14
	;; [unrolled: 1-line block ×3, first 2 shown]
	ds_write2_b64 v10, v[12:13], v[16:17] offset0:196 offset1:245
	v_sub_f32_e32 v12, v56, v33
	v_add_f32_e32 v13, v22, v57
	v_sub_f32_e32 v16, v29, v25
	v_sub_f32_e32 v18, v40, v38
	ds_write2_b64 v11, v[12:13], v[14:15] offset0:38 offset1:87
	v_sub_f32_e32 v12, v34, v27
	v_sub_f32_e32 v17, v30, v21
	;; [unrolled: 1-line block ×3, first 2 shown]
	v_add_f32_e32 v26, v18, v16
	v_sub_f32_e32 v13, v35, v23
	v_sub_f32_e32 v27, v18, v16
	v_sub_f32_e32 v18, v12, v18
	v_sub_f32_e32 v16, v16, v12
	v_add_f32_e32 v26, v26, v12
	v_add_f32_e32 v12, v19, v17
	v_sub_f32_e32 v28, v19, v17
	v_sub_f32_e32 v17, v17, v13
	v_add_f32_e32 v29, v12, v13
	v_mul_f32_e32 v27, 0xbf08b237, v27
	v_mul_f32_e32 v12, 0x3f5ff5aa, v16
	v_sub_f32_e32 v21, v48, v50
	v_sub_f32_e32 v24, v52, v54
	;; [unrolled: 1-line block ×3, first 2 shown]
	v_fma_f32 v16, v16, s5, -v27
	v_fmac_f32_e32 v27, 0x3eae86e6, v18
	v_fma_f32 v18, v18, s7, -v12
	v_mul_f32_e32 v28, 0xbf08b237, v28
	v_mul_f32_e32 v12, 0x3f5ff5aa, v17
	v_sub_f32_e32 v20, v49, v48
	v_sub_f32_e32 v22, v50, v49
	;; [unrolled: 1-line block ×4, first 2 shown]
	v_mov_b32_e32 v30, v14
	v_mov_b32_e32 v31, v15
	v_fma_f32 v17, v17, s5, -v28
	v_fmac_f32_e32 v28, 0x3eae86e6, v19
	v_fma_f32 v19, v19, s7, -v12
	v_mul_f32_e32 v12, 0x3f4a47b2, v21
	v_mul_f32_e32 v13, 0x3f4a47b2, v24
	v_fmac_f32_e32 v30, 0xbf955555, v51
	v_fmac_f32_e32 v31, 0xbf955555, v55
	v_fma_f32 v14, v20, s4, -v12
	v_fmac_f32_e32 v12, 0x3d64c772, v22
	v_fma_f32 v15, v23, s4, -v13
	v_fmac_f32_e32 v13, 0x3d64c772, v25
	v_add_f32_e32 v21, v12, v30
	v_add_f32_e32 v24, v13, v31
	;; [unrolled: 1-line block ×4, first 2 shown]
	v_fmac_f32_e32 v27, 0x3ee1c552, v26
	v_fmac_f32_e32 v28, 0x3ee1c552, v29
	;; [unrolled: 1-line block ×4, first 2 shown]
	v_add_f32_e32 v12, v28, v21
	v_sub_f32_e32 v13, v24, v27
	v_add_f32_e32 v14, v19, v32
	v_sub_f32_e32 v15, v33, v18
	ds_write2_b64 v11, v[12:13], v[14:15] offset0:136 offset1:185
	v_mul_f32_e32 v12, 0x3d64c772, v22
	v_mul_f32_e32 v13, 0x3d64c772, v25
	v_fma_f32 v12, v20, s6, -v12
	v_fma_f32 v13, v23, s6, -v13
	v_add_f32_e32 v14, v12, v30
	v_add_f32_e32 v15, v13, v31
	v_fmac_f32_e32 v16, 0x3ee1c552, v26
	v_fmac_f32_e32 v17, 0x3ee1c552, v29
	v_mov_b32_e32 v26, s9
	v_sub_f32_e32 v12, v14, v17
	v_add_f32_e32 v13, v16, v15
	v_add_f32_e32 v14, v17, v14
	v_sub_f32_e32 v15, v15, v16
	v_sub_f32_e32 v16, v32, v19
	v_add_f32_e32 v17, v18, v33
	v_addc_co_u32_e32 v7, vcc, v26, v7, vcc
	v_sub_f32_e32 v18, v21, v28
	v_add_f32_e32 v19, v27, v24
	ds_write2_b64 v9, v[12:13], v[14:15] offset0:106 offset1:155
	ds_write2_b64 v8, v[16:17], v[18:19] offset0:76 offset1:125
	s_waitcnt lgkmcnt(0)
	; wave barrier
	s_waitcnt lgkmcnt(0)
	global_load_dwordx2 v[12:13], v[6:7], off offset:3080
	global_load_dwordx2 v[16:17], v[6:7], off offset:3472
	s_movk_i32 s4, 0x1000
	v_add_co_u32_e32 v14, vcc, s4, v6
	v_addc_co_u32_e32 v15, vcc, 0, v7, vcc
	global_load_dwordx2 v[18:19], v[14:15], off offset:552
	global_load_dwordx2 v[20:21], v[14:15], off offset:944
	;; [unrolled: 1-line block ×4, first 2 shown]
	v_add_co_u32_e32 v4, vcc, s8, v4
	v_addc_co_u32_e32 v5, vcc, v26, v5, vcc
	global_load_dwordx2 v[26:27], v[4:5], off offset:2688
	ds_read2_b64 v[4:7], v11 offset0:136 offset1:185
	s_waitcnt vmcnt(6) lgkmcnt(0)
	v_mul_f32_e32 v14, v13, v5
	v_mul_f32_e32 v29, v13, v4
	v_fma_f32 v28, v12, v4, -v14
	v_fmac_f32_e32 v29, v12, v5
	ds_read2_b64 v[12:15], v8 offset0:76 offset1:125
	s_waitcnt vmcnt(5)
	v_mul_f32_e32 v4, v17, v7
	v_fma_f32 v30, v16, v6, -v4
	v_mul_f32_e32 v31, v17, v6
	v_fmac_f32_e32 v31, v16, v7
	s_waitcnt vmcnt(4) lgkmcnt(0)
	v_mul_f32_e32 v4, v13, v19
	v_fma_f32 v32, v12, v18, -v4
	ds_read_b64 v[4:5], v10 offset:3920
	v_mul_f32_e32 v33, v12, v19
	v_fmac_f32_e32 v33, v13, v18
	ds_read2_b32 v[12:13], v8 offset0:54 offset1:55
	s_waitcnt vmcnt(3)
	v_mul_f32_e32 v6, v15, v21
	v_fma_f32 v34, v14, v20, -v6
	s_waitcnt vmcnt(2) lgkmcnt(1)
	v_mul_f32_e32 v6, v23, v5
	v_mul_f32_e32 v37, v23, v4
	v_fma_f32 v36, v22, v4, -v6
	v_fmac_f32_e32 v37, v22, v5
	ds_read2_b64 v[4:7], v11 offset0:38 offset1:87
	v_mul_f32_e32 v35, v14, v21
	s_waitcnt vmcnt(1) lgkmcnt(1)
	v_mul_f32_e32 v14, v13, v25
	v_mul_f32_e32 v39, v25, v12
	v_fmac_f32_e32 v35, v15, v20
	v_fma_f32 v38, v24, v12, -v14
	v_fmac_f32_e32 v39, v13, v24
	ds_read2_b64 v[12:15], v10 offset1:49
	s_waitcnt vmcnt(0) lgkmcnt(1)
	v_mul_f32_e32 v16, v27, v7
	v_mul_f32_e32 v17, v27, v6
	v_fma_f32 v16, v26, v6, -v16
	v_fmac_f32_e32 v17, v26, v7
	s_waitcnt lgkmcnt(0)
	v_sub_f32_e32 v6, v12, v16
	v_sub_f32_e32 v7, v13, v17
	;; [unrolled: 1-line block ×4, first 2 shown]
	ds_read2_b64 v[16:19], v10 offset0:98 offset1:147
	v_fma_f32 v22, v12, 2.0, -v6
	v_fma_f32 v23, v13, 2.0, -v7
	;; [unrolled: 1-line block ×4, first 2 shown]
	ds_read2_b64 v[12:15], v10 offset0:196 offset1:245
	s_waitcnt lgkmcnt(1)
	v_sub_f32_e32 v26, v16, v30
	v_sub_f32_e32 v27, v17, v31
	;; [unrolled: 1-line block ×4, first 2 shown]
	s_waitcnt lgkmcnt(0)
	v_sub_f32_e32 v30, v12, v38
	v_sub_f32_e32 v31, v13, v39
	v_fma_f32 v18, v18, 2.0, -v28
	v_fma_f32 v19, v19, 2.0, -v29
	s_waitcnt lgkmcnt(0)
	; wave barrier
	ds_write2_b64 v9, v[28:29], v[30:31] offset0:106 offset1:155
	v_fma_f32 v12, v12, 2.0, -v30
	v_fma_f32 v13, v13, 2.0, -v31
	v_sub_f32_e32 v28, v14, v32
	v_sub_f32_e32 v29, v15, v33
	;; [unrolled: 1-line block ×4, first 2 shown]
	v_fma_f32 v16, v16, 2.0, -v26
	v_fma_f32 v17, v17, 2.0, -v27
	;; [unrolled: 1-line block ×6, first 2 shown]
	ds_write2_b64 v10, v[22:23], v[24:25] offset1:49
	ds_write2_b64 v11, v[20:21], v[26:27] offset0:136 offset1:185
	ds_write2_b64 v10, v[16:17], v[18:19] offset0:98 offset1:147
	;; [unrolled: 1-line block ×5, first 2 shown]
	s_waitcnt lgkmcnt(0)
	; wave barrier
	s_waitcnt lgkmcnt(0)
	s_and_saveexec_b64 s[4:5], s[0:1]
	s_cbranch_execz .LBB0_19
; %bb.18:
	v_lshl_add_u32 v8, v0, 3, 0
	ds_read2_b64 v[4:7], v8 offset1:49
	v_mov_b32_e32 v9, s3
	v_add_co_u32_e32 v10, vcc, s2, v2
	v_addc_co_u32_e32 v9, vcc, v9, v3, vcc
	v_lshlrev_b64 v[2:3], 3, v[0:1]
	v_add_u32_e32 v11, 0x800, v8
	v_add_co_u32_e32 v2, vcc, v10, v2
	v_addc_co_u32_e32 v3, vcc, v9, v3, vcc
	s_waitcnt lgkmcnt(0)
	global_store_dwordx2 v[2:3], v[4:5], off
	v_add_u32_e32 v2, 49, v0
	v_mov_b32_e32 v3, v1
	v_lshlrev_b64 v[2:3], 3, v[2:3]
	v_add_co_u32_e32 v2, vcc, v10, v2
	v_addc_co_u32_e32 v3, vcc, v9, v3, vcc
	global_store_dwordx2 v[2:3], v[6:7], off
	v_add_u32_e32 v6, 0x62, v0
	v_mov_b32_e32 v7, v1
	ds_read2_b64 v[2:5], v8 offset0:98 offset1:147
	v_lshlrev_b64 v[6:7], 3, v[6:7]
	v_add_co_u32_e32 v6, vcc, v10, v6
	v_addc_co_u32_e32 v7, vcc, v9, v7, vcc
	s_waitcnt lgkmcnt(0)
	global_store_dwordx2 v[6:7], v[2:3], off
	v_add_u32_e32 v2, 0x93, v0
	v_mov_b32_e32 v3, v1
	v_lshlrev_b64 v[2:3], 3, v[2:3]
	v_add_u32_e32 v6, 0xc4, v0
	v_add_co_u32_e32 v2, vcc, v10, v2
	v_addc_co_u32_e32 v3, vcc, v9, v3, vcc
	global_store_dwordx2 v[2:3], v[4:5], off
	v_mov_b32_e32 v7, v1
	ds_read2_b64 v[2:5], v8 offset0:196 offset1:245
	v_lshlrev_b64 v[6:7], 3, v[6:7]
	v_add_co_u32_e32 v6, vcc, v10, v6
	v_addc_co_u32_e32 v7, vcc, v9, v7, vcc
	s_waitcnt lgkmcnt(0)
	global_store_dwordx2 v[6:7], v[2:3], off
	v_add_u32_e32 v2, 0xf5, v0
	v_mov_b32_e32 v3, v1
	v_lshlrev_b64 v[2:3], 3, v[2:3]
	v_add_u32_e32 v6, 0x126, v0
	v_add_co_u32_e32 v2, vcc, v10, v2
	v_addc_co_u32_e32 v3, vcc, v9, v3, vcc
	global_store_dwordx2 v[2:3], v[4:5], off
	;; [unrolled: 14-line block ×4, first 2 shown]
	v_add_u32_e32 v2, 0xc00, v8
	v_mov_b32_e32 v7, v1
	ds_read2_b64 v[2:5], v2 offset0:106 offset1:155
	v_lshlrev_b64 v[6:7], 3, v[6:7]
	v_add_co_u32_e32 v6, vcc, v10, v6
	v_addc_co_u32_e32 v7, vcc, v9, v7, vcc
	s_waitcnt lgkmcnt(0)
	global_store_dwordx2 v[6:7], v[2:3], off
	v_add_u32_e32 v2, 0x21b, v0
	v_mov_b32_e32 v3, v1
	v_lshlrev_b64 v[2:3], 3, v[2:3]
	v_add_u32_e32 v6, 0x24c, v0
	v_add_co_u32_e32 v2, vcc, v10, v2
	v_addc_co_u32_e32 v3, vcc, v9, v3, vcc
	v_mov_b32_e32 v7, v1
	global_store_dwordx2 v[2:3], v[4:5], off
	v_add_u32_e32 v2, 0x1000, v8
	v_lshlrev_b64 v[6:7], 3, v[6:7]
	ds_read2_b64 v[2:5], v2 offset0:76 offset1:125
	v_add_u32_e32 v0, 0x27d, v0
	v_add_co_u32_e32 v6, vcc, v10, v6
	v_lshlrev_b64 v[0:1], 3, v[0:1]
	v_addc_co_u32_e32 v7, vcc, v9, v7, vcc
	v_add_co_u32_e32 v0, vcc, v10, v0
	v_addc_co_u32_e32 v1, vcc, v9, v1, vcc
	s_waitcnt lgkmcnt(0)
	global_store_dwordx2 v[6:7], v[2:3], off
	global_store_dwordx2 v[0:1], v[4:5], off
.LBB0_19:
	s_endpgm
	.section	.rodata,"a",@progbits
	.p2align	6, 0x0
	.amdhsa_kernel fft_rtc_fwd_len686_factors_7_7_7_2_wgs_49_tpt_49_sp_ip_CI_unitstride_sbrr_C2R_dirReg
		.amdhsa_group_segment_fixed_size 0
		.amdhsa_private_segment_fixed_size 0
		.amdhsa_kernarg_size 88
		.amdhsa_user_sgpr_count 6
		.amdhsa_user_sgpr_private_segment_buffer 1
		.amdhsa_user_sgpr_dispatch_ptr 0
		.amdhsa_user_sgpr_queue_ptr 0
		.amdhsa_user_sgpr_kernarg_segment_ptr 1
		.amdhsa_user_sgpr_dispatch_id 0
		.amdhsa_user_sgpr_flat_scratch_init 0
		.amdhsa_user_sgpr_private_segment_size 0
		.amdhsa_uses_dynamic_stack 0
		.amdhsa_system_sgpr_private_segment_wavefront_offset 0
		.amdhsa_system_sgpr_workgroup_id_x 1
		.amdhsa_system_sgpr_workgroup_id_y 0
		.amdhsa_system_sgpr_workgroup_id_z 0
		.amdhsa_system_sgpr_workgroup_info 0
		.amdhsa_system_vgpr_workitem_id 0
		.amdhsa_next_free_vgpr 62
		.amdhsa_next_free_sgpr 22
		.amdhsa_reserve_vcc 1
		.amdhsa_reserve_flat_scratch 0
		.amdhsa_float_round_mode_32 0
		.amdhsa_float_round_mode_16_64 0
		.amdhsa_float_denorm_mode_32 3
		.amdhsa_float_denorm_mode_16_64 3
		.amdhsa_dx10_clamp 1
		.amdhsa_ieee_mode 1
		.amdhsa_fp16_overflow 0
		.amdhsa_exception_fp_ieee_invalid_op 0
		.amdhsa_exception_fp_denorm_src 0
		.amdhsa_exception_fp_ieee_div_zero 0
		.amdhsa_exception_fp_ieee_overflow 0
		.amdhsa_exception_fp_ieee_underflow 0
		.amdhsa_exception_fp_ieee_inexact 0
		.amdhsa_exception_int_div_zero 0
	.end_amdhsa_kernel
	.text
.Lfunc_end0:
	.size	fft_rtc_fwd_len686_factors_7_7_7_2_wgs_49_tpt_49_sp_ip_CI_unitstride_sbrr_C2R_dirReg, .Lfunc_end0-fft_rtc_fwd_len686_factors_7_7_7_2_wgs_49_tpt_49_sp_ip_CI_unitstride_sbrr_C2R_dirReg
                                        ; -- End function
	.section	.AMDGPU.csdata,"",@progbits
; Kernel info:
; codeLenInByte = 7608
; NumSgprs: 26
; NumVgprs: 62
; ScratchSize: 0
; MemoryBound: 0
; FloatMode: 240
; IeeeMode: 1
; LDSByteSize: 0 bytes/workgroup (compile time only)
; SGPRBlocks: 3
; VGPRBlocks: 15
; NumSGPRsForWavesPerEU: 26
; NumVGPRsForWavesPerEU: 62
; Occupancy: 4
; WaveLimiterHint : 1
; COMPUTE_PGM_RSRC2:SCRATCH_EN: 0
; COMPUTE_PGM_RSRC2:USER_SGPR: 6
; COMPUTE_PGM_RSRC2:TRAP_HANDLER: 0
; COMPUTE_PGM_RSRC2:TGID_X_EN: 1
; COMPUTE_PGM_RSRC2:TGID_Y_EN: 0
; COMPUTE_PGM_RSRC2:TGID_Z_EN: 0
; COMPUTE_PGM_RSRC2:TIDIG_COMP_CNT: 0
	.type	__hip_cuid_8b9b7aa67335e51e,@object ; @__hip_cuid_8b9b7aa67335e51e
	.section	.bss,"aw",@nobits
	.globl	__hip_cuid_8b9b7aa67335e51e
__hip_cuid_8b9b7aa67335e51e:
	.byte	0                               ; 0x0
	.size	__hip_cuid_8b9b7aa67335e51e, 1

	.ident	"AMD clang version 19.0.0git (https://github.com/RadeonOpenCompute/llvm-project roc-6.4.0 25133 c7fe45cf4b819c5991fe208aaa96edf142730f1d)"
	.section	".note.GNU-stack","",@progbits
	.addrsig
	.addrsig_sym __hip_cuid_8b9b7aa67335e51e
	.amdgpu_metadata
---
amdhsa.kernels:
  - .args:
      - .actual_access:  read_only
        .address_space:  global
        .offset:         0
        .size:           8
        .value_kind:     global_buffer
      - .offset:         8
        .size:           8
        .value_kind:     by_value
      - .actual_access:  read_only
        .address_space:  global
        .offset:         16
        .size:           8
        .value_kind:     global_buffer
      - .actual_access:  read_only
        .address_space:  global
        .offset:         24
        .size:           8
        .value_kind:     global_buffer
      - .offset:         32
        .size:           8
        .value_kind:     by_value
      - .actual_access:  read_only
        .address_space:  global
        .offset:         40
        .size:           8
        .value_kind:     global_buffer
      - .actual_access:  read_only
        .address_space:  global
        .offset:         48
        .size:           8
        .value_kind:     global_buffer
      - .offset:         56
        .size:           4
        .value_kind:     by_value
      - .actual_access:  read_only
        .address_space:  global
        .offset:         64
        .size:           8
        .value_kind:     global_buffer
      - .actual_access:  read_only
        .address_space:  global
        .offset:         72
        .size:           8
        .value_kind:     global_buffer
      - .address_space:  global
        .offset:         80
        .size:           8
        .value_kind:     global_buffer
    .group_segment_fixed_size: 0
    .kernarg_segment_align: 8
    .kernarg_segment_size: 88
    .language:       OpenCL C
    .language_version:
      - 2
      - 0
    .max_flat_workgroup_size: 49
    .name:           fft_rtc_fwd_len686_factors_7_7_7_2_wgs_49_tpt_49_sp_ip_CI_unitstride_sbrr_C2R_dirReg
    .private_segment_fixed_size: 0
    .sgpr_count:     26
    .sgpr_spill_count: 0
    .symbol:         fft_rtc_fwd_len686_factors_7_7_7_2_wgs_49_tpt_49_sp_ip_CI_unitstride_sbrr_C2R_dirReg.kd
    .uniform_work_group_size: 1
    .uses_dynamic_stack: false
    .vgpr_count:     62
    .vgpr_spill_count: 0
    .wavefront_size: 64
amdhsa.target:   amdgcn-amd-amdhsa--gfx906
amdhsa.version:
  - 1
  - 2
...

	.end_amdgpu_metadata
